;; amdgpu-corpus repo=ROCm/rocm-examples kind=compiled arch=gfx906 opt=O3
	.amdgcn_target "amdgcn-amd-amdhsa--gfx906"
	.amdhsa_code_object_version 6
	.text
	.protected	_Z21backprojection_kernelPfm15HIP_vector_typeIyLj3EES0_IfLj3EEP13__hip_textureS0_IfLj2EEffS5_ff ; -- Begin function _Z21backprojection_kernelPfm15HIP_vector_typeIyLj3EES0_IfLj3EEP13__hip_textureS0_IfLj2EEffS5_ff
	.globl	_Z21backprojection_kernelPfm15HIP_vector_typeIyLj3EES0_IfLj3EEP13__hip_textureS0_IfLj2EEffS5_ff
	.p2align	8
	.type	_Z21backprojection_kernelPfm15HIP_vector_typeIyLj3EES0_IfLj3EEP13__hip_textureS0_IfLj2EEffS5_ff,@function
_Z21backprojection_kernelPfm15HIP_vector_typeIyLj3EES0_IfLj3EEP13__hip_textureS0_IfLj2EEffS5_ff: ; @_Z21backprojection_kernelPfm15HIP_vector_typeIyLj3EES0_IfLj3EEP13__hip_textureS0_IfLj2EEffS5_ff
; %bb.0:
	s_endpgm
	.section	.rodata,"a",@progbits
	.p2align	6, 0x0
	.amdhsa_kernel _Z21backprojection_kernelPfm15HIP_vector_typeIyLj3EES0_IfLj3EEP13__hip_textureS0_IfLj2EEffS5_ff
		.amdhsa_group_segment_fixed_size 0
		.amdhsa_private_segment_fixed_size 0
		.amdhsa_kernarg_size 96
		.amdhsa_user_sgpr_count 6
		.amdhsa_user_sgpr_private_segment_buffer 1
		.amdhsa_user_sgpr_dispatch_ptr 0
		.amdhsa_user_sgpr_queue_ptr 0
		.amdhsa_user_sgpr_kernarg_segment_ptr 1
		.amdhsa_user_sgpr_dispatch_id 0
		.amdhsa_user_sgpr_flat_scratch_init 0
		.amdhsa_user_sgpr_private_segment_size 0
		.amdhsa_uses_dynamic_stack 0
		.amdhsa_system_sgpr_private_segment_wavefront_offset 0
		.amdhsa_system_sgpr_workgroup_id_x 1
		.amdhsa_system_sgpr_workgroup_id_y 0
		.amdhsa_system_sgpr_workgroup_id_z 0
		.amdhsa_system_sgpr_workgroup_info 0
		.amdhsa_system_vgpr_workitem_id 0
		.amdhsa_next_free_vgpr 1
		.amdhsa_next_free_sgpr 0
		.amdhsa_reserve_vcc 0
		.amdhsa_reserve_flat_scratch 0
		.amdhsa_float_round_mode_32 0
		.amdhsa_float_round_mode_16_64 0
		.amdhsa_float_denorm_mode_32 3
		.amdhsa_float_denorm_mode_16_64 3
		.amdhsa_dx10_clamp 1
		.amdhsa_ieee_mode 1
		.amdhsa_fp16_overflow 0
		.amdhsa_exception_fp_ieee_invalid_op 0
		.amdhsa_exception_fp_denorm_src 0
		.amdhsa_exception_fp_ieee_div_zero 0
		.amdhsa_exception_fp_ieee_overflow 0
		.amdhsa_exception_fp_ieee_underflow 0
		.amdhsa_exception_fp_ieee_inexact 0
		.amdhsa_exception_int_div_zero 0
	.end_amdhsa_kernel
	.text
.Lfunc_end0:
	.size	_Z21backprojection_kernelPfm15HIP_vector_typeIyLj3EES0_IfLj3EEP13__hip_textureS0_IfLj2EEffS5_ff, .Lfunc_end0-_Z21backprojection_kernelPfm15HIP_vector_typeIyLj3EES0_IfLj3EEP13__hip_textureS0_IfLj2EEffS5_ff
                                        ; -- End function
	.set _Z21backprojection_kernelPfm15HIP_vector_typeIyLj3EES0_IfLj3EEP13__hip_textureS0_IfLj2EEffS5_ff.num_vgpr, 0
	.set _Z21backprojection_kernelPfm15HIP_vector_typeIyLj3EES0_IfLj3EEP13__hip_textureS0_IfLj2EEffS5_ff.num_agpr, 0
	.set _Z21backprojection_kernelPfm15HIP_vector_typeIyLj3EES0_IfLj3EEP13__hip_textureS0_IfLj2EEffS5_ff.numbered_sgpr, 0
	.set _Z21backprojection_kernelPfm15HIP_vector_typeIyLj3EES0_IfLj3EEP13__hip_textureS0_IfLj2EEffS5_ff.num_named_barrier, 0
	.set _Z21backprojection_kernelPfm15HIP_vector_typeIyLj3EES0_IfLj3EEP13__hip_textureS0_IfLj2EEffS5_ff.private_seg_size, 0
	.set _Z21backprojection_kernelPfm15HIP_vector_typeIyLj3EES0_IfLj3EEP13__hip_textureS0_IfLj2EEffS5_ff.uses_vcc, 0
	.set _Z21backprojection_kernelPfm15HIP_vector_typeIyLj3EES0_IfLj3EEP13__hip_textureS0_IfLj2EEffS5_ff.uses_flat_scratch, 0
	.set _Z21backprojection_kernelPfm15HIP_vector_typeIyLj3EES0_IfLj3EEP13__hip_textureS0_IfLj2EEffS5_ff.has_dyn_sized_stack, 0
	.set _Z21backprojection_kernelPfm15HIP_vector_typeIyLj3EES0_IfLj3EEP13__hip_textureS0_IfLj2EEffS5_ff.has_recursion, 0
	.set _Z21backprojection_kernelPfm15HIP_vector_typeIyLj3EES0_IfLj3EEP13__hip_textureS0_IfLj2EEffS5_ff.has_indirect_call, 0
	.section	.AMDGPU.csdata,"",@progbits
; Kernel info:
; codeLenInByte = 4
; TotalNumSgprs: 4
; NumVgprs: 0
; ScratchSize: 0
; MemoryBound: 0
; FloatMode: 240
; IeeeMode: 1
; LDSByteSize: 0 bytes/workgroup (compile time only)
; SGPRBlocks: 0
; VGPRBlocks: 0
; NumSGPRsForWavesPerEU: 4
; NumVGPRsForWavesPerEU: 1
; Occupancy: 10
; WaveLimiterHint : 0
; COMPUTE_PGM_RSRC2:SCRATCH_EN: 0
; COMPUTE_PGM_RSRC2:USER_SGPR: 6
; COMPUTE_PGM_RSRC2:TRAP_HANDLER: 0
; COMPUTE_PGM_RSRC2:TGID_X_EN: 1
; COMPUTE_PGM_RSRC2:TGID_Y_EN: 0
; COMPUTE_PGM_RSRC2:TGID_Z_EN: 0
; COMPUTE_PGM_RSRC2:TIDIG_COMP_CNT: 0
	.text
	.protected	_Z28backprojection_kernel_no_texPfm15HIP_vector_typeIyLj3EES0_IfLj3EEPKfmS0_IjLj2EES0_IfLj2EEffS6_ff ; -- Begin function _Z28backprojection_kernel_no_texPfm15HIP_vector_typeIyLj3EES0_IfLj3EEPKfmS0_IjLj2EES0_IfLj2EEffS6_ff
	.globl	_Z28backprojection_kernel_no_texPfm15HIP_vector_typeIyLj3EES0_IfLj3EEPKfmS0_IjLj2EES0_IfLj2EEffS6_ff
	.p2align	8
	.type	_Z28backprojection_kernel_no_texPfm15HIP_vector_typeIyLj3EES0_IfLj3EEPKfmS0_IjLj2EES0_IfLj2EEffS6_ff,@function
_Z28backprojection_kernel_no_texPfm15HIP_vector_typeIyLj3EES0_IfLj3EEPKfmS0_IjLj2EES0_IfLj2EEffS6_ff: ; @_Z28backprojection_kernel_no_texPfm15HIP_vector_typeIyLj3EES0_IfLj3EEPKfmS0_IjLj2EES0_IfLj2EEffS6_ff
; %bb.0:
	s_load_dword s0, s[4:5], 0x7c
	s_load_dwordx8 s[12:19], s[4:5], 0x8
	v_mov_b32_e32 v6, 0
	v_mov_b32_e32 v4, v6
	s_waitcnt lgkmcnt(0)
	s_and_b32 s1, s0, 0xffff
	s_mul_i32 s6, s6, s1
	v_add_u32_e32 v3, s6, v0
	v_cmp_gt_u64_e32 vcc, s[14:15], v[3:4]
	s_and_saveexec_b64 s[2:3], vcc
	s_cbranch_execz .LBB1_21
; %bb.1:
	s_load_dword s1, s[4:5], 0x80
	s_lshr_b32 s0, s0, 16
	s_mul_i32 s7, s7, s0
	v_add_u32_e32 v5, s7, v1
	v_cmp_gt_u64_e32 vcc, s[16:17], v[5:6]
	s_waitcnt lgkmcnt(0)
	s_and_b32 s0, s1, 0xffff
	s_and_b64 exec, exec, vcc
	s_cbranch_execz .LBB1_21
; %bb.2:
	s_and_b32 s0, s0, 0xffff
	s_mul_i32 s8, s8, s0
	v_add_u32_e32 v0, s8, v2
	v_mov_b32_e32 v1, 0
	v_cmp_gt_u64_e32 vcc, s[18:19], v[0:1]
	s_and_b64 exec, exec, vcc
	s_cbranch_execz .LBB1_21
; %bb.3:
	s_flbit_i32_b32 s0, s15
	s_min_u32 s2, s0, 32
	s_lshl_b64 s[0:1], s[14:15], s2
	s_min_u32 s0, s0, 1
	s_or_b32 s0, s1, s0
	v_cvt_f32_u32_e32 v2, s0
	s_sub_i32 s0, 32, s2
	v_cvt_f32_u32_e32 v6, v3
	v_cvt_f32_u32_e32 v7, v5
	v_ldexp_f32 v2, v2, s0
	s_flbit_i32_b32 s0, s17
	s_min_u32 s2, s0, 32
	s_lshl_b64 s[0:1], s[16:17], s2
	s_min_u32 s0, s0, 1
	v_add_f32_e32 v2, -1.0, v2
	s_or_b32 s0, s1, s0
	v_fmac_f32_e32 v6, -0.5, v2
	v_cvt_f32_u32_e32 v2, s0
	s_load_dwordx8 s[20:27], s[4:5], 0x28
	s_load_dwordx8 s[36:43], s[4:5], 0x48
	s_sub_i32 s0, 32, s2
	s_load_dwordx2 s[10:11], s[4:5], 0x68
	v_ldexp_f32 v2, v2, s0
	v_add_f32_e32 v2, -1.0, v2
	v_fmac_f32_e32 v7, -0.5, v2
	s_waitcnt lgkmcnt(0)
	v_mul_f32_e32 v2, s21, v7
	v_mul_f32_e32 v6, s20, v6
	;; [unrolled: 1-line block ×3, first 2 shown]
	v_fmac_f32_e32 v7, s41, v6
	v_add_f32_e32 v10, s11, v7
	v_div_scale_f32 v7, s[0:1], v10, v10, s10
	v_div_scale_f32 v8, vcc, s10, v10, s10
	s_flbit_i32_b32 s0, s19
	s_min_u32 s2, s0, 32
	s_lshl_b64 s[0:1], s[18:19], s2
	s_min_u32 s0, s0, 1
	s_or_b32 s0, s1, s0
	v_mul_f32_e32 v6, s40, v6
	v_fma_f32 v2, s41, v2, -v6
	v_rcp_f32_e32 v9, v7
	v_fma_f32 v11, -v7, v9, 1.0
	v_fmac_f32_e32 v9, v11, v9
	v_mul_f32_e32 v11, v8, v9
	v_fma_f32 v12, -v7, v11, v8
	v_fmac_f32_e32 v11, v12, v9
	v_fma_f32 v7, -v7, v11, v8
	v_div_fmas_f32 v7, v7, v9, v11
	v_cvt_f32_u32_e32 v8, s0
	v_cvt_f32_u32_e32 v9, v0
	s_sub_i32 s0, 32, s2
	v_ldexp_f32 v8, v8, s0
	v_add_f32_e32 v8, -1.0, v8
	v_fmac_f32_e32 v9, -0.5, v8
	v_mul_f32_e32 v8, s22, v9
	v_div_fixup_f32 v6, v7, v10, s10
	v_fma_f32 v2, v2, v6, -s38
	v_div_scale_f32 v7, s[0:1], s42, s42, v2
	v_fma_f32 v6, v8, v6, -s39
	v_div_scale_f32 v8, s[0:1], s43, s43, v6
	v_div_scale_f32 v9, vcc, v2, s42, v2
	v_div_scale_f32 v11, s[0:1], v6, s43, v6
	v_rcp_f32_e32 v12, v7
	v_rcp_f32_e32 v13, v8
	v_fma_f32 v14, -v7, v12, 1.0
	v_fmac_f32_e32 v12, v14, v12
	v_mul_f32_e32 v14, v9, v12
	v_fma_f32 v15, -v8, v13, 1.0
	v_fmac_f32_e32 v13, v15, v13
	v_mul_f32_e32 v15, v11, v13
	v_fma_f32 v16, -v7, v14, v9
	v_fma_f32 v17, -v8, v15, v11
	v_fmac_f32_e32 v14, v16, v12
	v_fmac_f32_e32 v15, v17, v13
	v_fma_f32 v7, -v7, v14, v9
	v_fma_f32 v8, -v8, v15, v11
	v_div_fmas_f32 v7, v7, v12, v14
	s_mov_b64 vcc, s[0:1]
	v_div_fmas_f32 v8, v8, v13, v15
	v_div_fixup_f32 v2, v7, s42, v2
	v_add_f32_e32 v2, 0.5, v2
	v_div_fixup_f32 v6, v8, s43, v6
	v_add_f32_e32 v6, 0.5, v6
	v_add_f32_e32 v12, -0.5, v2
	v_trunc_f32_e32 v14, v12
	v_add_f32_e32 v11, -0.5, v6
	v_cvt_i32_f32_e32 v6, v14
	v_trunc_f32_e32 v13, v11
	v_cvt_i32_f32_e32 v2, v13
	v_cmp_lt_i32_e32 vcc, -1, v6
	s_and_saveexec_b64 s[6:7], vcc
	s_cbranch_execz .LBB1_7
; %bb.4:
	v_cmp_gt_i32_e64 s[0:1], s36, v6
	v_cmp_lt_i32_e64 s[2:3], -1, v2
	s_and_b64 s[2:3], s[0:1], s[2:3]
	v_cmp_gt_i32_e64 s[0:1], s37, v2
	s_and_b64 s[0:1], s[2:3], s[0:1]
	v_mov_b32_e32 v1, 0
	s_and_saveexec_b64 s[2:3], s[0:1]
	s_cbranch_execz .LBB1_6
; %bb.5:
	v_mov_b32_e32 v7, s24
	v_mov_b32_e32 v8, s25
	v_mad_u64_u32 v[8:9], s[0:1], s26, v2, v[7:8]
	v_mov_b32_e32 v7, 0
	v_mov_b32_e32 v1, v9
	v_mad_u64_u32 v[15:16], s[0:1], s27, v2, v[1:2]
	v_lshlrev_b64 v[16:17], 2, v[6:7]
	v_add_co_u32_e64 v7, s[0:1], v8, v16
	v_addc_co_u32_e64 v8, s[0:1], v15, v17, s[0:1]
	global_load_dword v1, v[7:8], off
.LBB1_6:
	s_or_b64 exec, exec, s[2:3]
.LBB1_7:
	s_or_b64 exec, exec, s[6:7]
	v_add_u32_e32 v8, 1, v6
	v_cmp_lt_i32_e64 s[0:1], -2, v6
	v_mov_b32_e32 v7, 0
	v_mov_b32_e32 v15, 0
	s_and_saveexec_b64 s[14:15], s[0:1]
	s_cbranch_execz .LBB1_11
; %bb.8:
	v_cmp_lt_i32_e64 s[6:7], -1, v2
	v_cmp_gt_i32_e64 s[8:9], s37, v2
	v_cmp_gt_i32_e64 s[2:3], s36, v8
	s_and_b64 s[6:7], s[6:7], s[8:9]
	s_and_b64 s[2:3], s[6:7], s[2:3]
	v_mov_b32_e32 v15, 0
	s_and_saveexec_b64 s[6:7], s[2:3]
	s_cbranch_execz .LBB1_10
; %bb.9:
	v_mov_b32_e32 v15, s24
	v_mov_b32_e32 v16, s25
	v_mad_u64_u32 v[15:16], s[2:3], s26, v2, v[15:16]
	v_mov_b32_e32 v9, 0
	v_mad_u64_u32 v[16:17], s[2:3], s27, v2, v[16:17]
	v_lshlrev_b64 v[17:18], 2, v[8:9]
	v_add_co_u32_e64 v15, s[2:3], v15, v17
	v_addc_co_u32_e64 v16, s[2:3], v16, v18, s[2:3]
	global_load_dword v15, v[15:16], off
.LBB1_10:
	s_or_b64 exec, exec, s[6:7]
.LBB1_11:
	s_or_b64 exec, exec, s[14:15]
	s_load_dwordx2 s[4:5], s[4:5], 0x0
	v_add_u32_e32 v16, 1, v2
	s_and_saveexec_b64 s[6:7], vcc
	s_cbranch_execz .LBB1_15
; %bb.12:
	v_cmp_gt_i32_e32 vcc, s36, v6
	v_cmp_lt_i32_e64 s[2:3], -2, v2
	s_and_b64 s[2:3], vcc, s[2:3]
	v_cmp_gt_i32_e32 vcc, s37, v16
	s_and_b64 s[8:9], s[2:3], vcc
	v_mov_b32_e32 v7, 0
	s_and_saveexec_b64 s[2:3], s[8:9]
	s_cbranch_execz .LBB1_14
; %bb.13:
	v_mov_b32_e32 v17, s24
	v_mov_b32_e32 v18, s25
	v_mad_u64_u32 v[17:18], s[8:9], s26, v16, v[17:18]
	v_mov_b32_e32 v7, 0
	v_lshlrev_b64 v[6:7], 2, v[6:7]
	v_mov_b32_e32 v9, v18
	v_mad_u64_u32 v[18:19], s[8:9], s27, v16, v[9:10]
	v_add_co_u32_e32 v6, vcc, v17, v6
	v_addc_co_u32_e32 v7, vcc, v18, v7, vcc
	global_load_dword v7, v[6:7], off
.LBB1_14:
	s_or_b64 exec, exec, s[2:3]
.LBB1_15:
	s_or_b64 exec, exec, s[6:7]
	v_mov_b32_e32 v6, 0
	s_and_saveexec_b64 s[6:7], s[0:1]
	s_cbranch_execz .LBB1_19
; %bb.16:
	v_cmp_gt_i32_e32 vcc, s36, v8
	v_cmp_gt_i32_e64 s[2:3], s37, v16
	v_cmp_lt_i32_e64 s[0:1], -2, v2
	s_and_b64 s[2:3], vcc, s[2:3]
	s_and_b64 s[2:3], s[2:3], s[0:1]
	v_mov_b32_e32 v6, 0
	s_and_saveexec_b64 s[0:1], s[2:3]
	s_cbranch_execz .LBB1_18
; %bb.17:
	v_mov_b32_e32 v17, s24
	v_mov_b32_e32 v18, s25
	v_mad_u64_u32 v[17:18], s[2:3], s26, v16, v[17:18]
	v_mov_b32_e32 v9, 0
	v_lshlrev_b64 v[8:9], 2, v[8:9]
	v_mov_b32_e32 v2, v18
	v_mad_u64_u32 v[18:19], s[2:3], s27, v16, v[2:3]
	v_add_co_u32_e32 v8, vcc, v17, v8
	v_addc_co_u32_e32 v9, vcc, v18, v9, vcc
	global_load_dword v6, v[8:9], off
.LBB1_18:
	s_or_b64 exec, exec, s[0:1]
.LBB1_19:
	s_or_b64 exec, exec, s[6:7]
	s_waitcnt lgkmcnt(0)
	v_mov_b32_e32 v9, s5
	s_mul_i32 s0, s16, s12
	v_mov_b32_e32 v8, s4
	v_mad_u64_u32 v[8:9], s[0:1], s0, v0, v[8:9]
	s_mul_i32 s2, s16, s13
	s_mul_hi_u32 s3, s16, s12
	s_add_i32 s0, s3, s2
	s_mul_i32 s1, s17, s12
	s_add_i32 s0, s0, s1
	v_mov_b32_e32 v2, v9
	v_mad_u64_u32 v[16:17], s[0:1], s0, v0, v[2:3]
	v_lshlrev_b64 v[2:3], 2, v[3:4]
	s_mov_b32 s2, 0x7f800000
	v_mov_b32_e32 v9, v16
	v_mad_u64_u32 v[8:9], s[0:1], s12, v5, v[8:9]
	v_mov_b32_e32 v0, v9
	s_waitcnt vmcnt(0)
	v_mad_u64_u32 v[16:17], s[0:1], s13, v5, v[0:1]
	v_add_co_u32_e32 v2, vcc, v8, v2
	v_addc_co_u32_e32 v3, vcc, v16, v3, vcc
	global_load_dword v5, v[2:3], off
	v_div_scale_f32 v0, s[0:1], v10, v10, -s11
	v_div_scale_f32 v4, vcc, -s11, v10, -s11
	v_sub_f32_e32 v8, v12, v14
	v_cmp_neq_f32_e64 s[0:1], |v12|, s2
	v_cndmask_b32_e64 v8, 0, v8, s[0:1]
	s_brev_b32 s0, -2
	v_rcp_f32_e32 v9, v0
	v_fma_f32 v14, -v0, v9, 1.0
	v_fmac_f32_e32 v9, v14, v9
	v_mul_f32_e32 v14, v4, v9
	v_fma_f32 v16, -v0, v14, v4
	v_fmac_f32_e32 v14, v16, v9
	v_fma_f32 v0, -v0, v14, v4
	v_div_fmas_f32 v0, v0, v9, v14
	v_bfi_b32 v4, s0, v8, v12
	v_sub_f32_e32 v8, v11, v13
	v_cmp_neq_f32_e64 vcc, |v11|, s2
	v_cndmask_b32_e32 v8, 0, v8, vcc
	v_bfi_b32 v8, s0, v8, v11
	v_sub_f32_e32 v11, 1.0, v4
	v_mul_f32_e32 v9, v4, v8
	v_mul_f32_e32 v12, v8, v11
	v_sub_f32_e32 v8, 1.0, v8
	v_mul_f32_e32 v4, v4, v8
	v_mul_f32_e32 v4, v4, v15
	;; [unrolled: 1-line block ×3, first 2 shown]
	v_fmac_f32_e32 v4, v8, v1
	v_fmac_f32_e32 v4, v12, v7
	;; [unrolled: 1-line block ×3, first 2 shown]
	v_div_fixup_f32 v0, v0, v10, -s11
	v_mul_f32_e32 v1, 0.5, v4
	v_mul_f32_e32 v1, v0, v1
	v_mul_f32_e32 v0, v0, v1
	s_mov_b64 s[0:1], 0
.LBB1_20:                               ; =>This Inner Loop Header: Depth=1
	s_waitcnt vmcnt(0)
	v_add_f32_e32 v4, v5, v0
	global_atomic_cmpswap v1, v[2:3], v[4:5], off glc
	s_waitcnt vmcnt(0)
	v_cmp_eq_u32_e32 vcc, v1, v5
	s_or_b64 s[0:1], vcc, s[0:1]
	v_mov_b32_e32 v5, v1
	s_andn2_b64 exec, exec, s[0:1]
	s_cbranch_execnz .LBB1_20
.LBB1_21:
	s_endpgm
	.section	.rodata,"a",@progbits
	.p2align	6, 0x0
	.amdhsa_kernel _Z28backprojection_kernel_no_texPfm15HIP_vector_typeIyLj3EES0_IfLj3EEPKfmS0_IjLj2EES0_IfLj2EEffS6_ff
		.amdhsa_group_segment_fixed_size 0
		.amdhsa_private_segment_fixed_size 0
		.amdhsa_kernarg_size 368
		.amdhsa_user_sgpr_count 6
		.amdhsa_user_sgpr_private_segment_buffer 1
		.amdhsa_user_sgpr_dispatch_ptr 0
		.amdhsa_user_sgpr_queue_ptr 0
		.amdhsa_user_sgpr_kernarg_segment_ptr 1
		.amdhsa_user_sgpr_dispatch_id 0
		.amdhsa_user_sgpr_flat_scratch_init 0
		.amdhsa_user_sgpr_private_segment_size 0
		.amdhsa_uses_dynamic_stack 0
		.amdhsa_system_sgpr_private_segment_wavefront_offset 0
		.amdhsa_system_sgpr_workgroup_id_x 1
		.amdhsa_system_sgpr_workgroup_id_y 1
		.amdhsa_system_sgpr_workgroup_id_z 1
		.amdhsa_system_sgpr_workgroup_info 0
		.amdhsa_system_vgpr_workitem_id 2
		.amdhsa_next_free_vgpr 20
		.amdhsa_next_free_sgpr 44
		.amdhsa_reserve_vcc 1
		.amdhsa_reserve_flat_scratch 0
		.amdhsa_float_round_mode_32 0
		.amdhsa_float_round_mode_16_64 0
		.amdhsa_float_denorm_mode_32 3
		.amdhsa_float_denorm_mode_16_64 3
		.amdhsa_dx10_clamp 1
		.amdhsa_ieee_mode 1
		.amdhsa_fp16_overflow 0
		.amdhsa_exception_fp_ieee_invalid_op 0
		.amdhsa_exception_fp_denorm_src 0
		.amdhsa_exception_fp_ieee_div_zero 0
		.amdhsa_exception_fp_ieee_overflow 0
		.amdhsa_exception_fp_ieee_underflow 0
		.amdhsa_exception_fp_ieee_inexact 0
		.amdhsa_exception_int_div_zero 0
	.end_amdhsa_kernel
	.text
.Lfunc_end1:
	.size	_Z28backprojection_kernel_no_texPfm15HIP_vector_typeIyLj3EES0_IfLj3EEPKfmS0_IjLj2EES0_IfLj2EEffS6_ff, .Lfunc_end1-_Z28backprojection_kernel_no_texPfm15HIP_vector_typeIyLj3EES0_IfLj3EEPKfmS0_IjLj2EES0_IfLj2EEffS6_ff
                                        ; -- End function
	.set _Z28backprojection_kernel_no_texPfm15HIP_vector_typeIyLj3EES0_IfLj3EEPKfmS0_IjLj2EES0_IfLj2EEffS6_ff.num_vgpr, 20
	.set _Z28backprojection_kernel_no_texPfm15HIP_vector_typeIyLj3EES0_IfLj3EEPKfmS0_IjLj2EES0_IfLj2EEffS6_ff.num_agpr, 0
	.set _Z28backprojection_kernel_no_texPfm15HIP_vector_typeIyLj3EES0_IfLj3EEPKfmS0_IjLj2EES0_IfLj2EEffS6_ff.numbered_sgpr, 44
	.set _Z28backprojection_kernel_no_texPfm15HIP_vector_typeIyLj3EES0_IfLj3EEPKfmS0_IjLj2EES0_IfLj2EEffS6_ff.num_named_barrier, 0
	.set _Z28backprojection_kernel_no_texPfm15HIP_vector_typeIyLj3EES0_IfLj3EEPKfmS0_IjLj2EES0_IfLj2EEffS6_ff.private_seg_size, 0
	.set _Z28backprojection_kernel_no_texPfm15HIP_vector_typeIyLj3EES0_IfLj3EEPKfmS0_IjLj2EES0_IfLj2EEffS6_ff.uses_vcc, 1
	.set _Z28backprojection_kernel_no_texPfm15HIP_vector_typeIyLj3EES0_IfLj3EEPKfmS0_IjLj2EES0_IfLj2EEffS6_ff.uses_flat_scratch, 0
	.set _Z28backprojection_kernel_no_texPfm15HIP_vector_typeIyLj3EES0_IfLj3EEPKfmS0_IjLj2EES0_IfLj2EEffS6_ff.has_dyn_sized_stack, 0
	.set _Z28backprojection_kernel_no_texPfm15HIP_vector_typeIyLj3EES0_IfLj3EEPKfmS0_IjLj2EES0_IfLj2EEffS6_ff.has_recursion, 0
	.set _Z28backprojection_kernel_no_texPfm15HIP_vector_typeIyLj3EES0_IfLj3EEPKfmS0_IjLj2EES0_IfLj2EEffS6_ff.has_indirect_call, 0
	.section	.AMDGPU.csdata,"",@progbits
; Kernel info:
; codeLenInByte = 1456
; TotalNumSgprs: 48
; NumVgprs: 20
; ScratchSize: 0
; MemoryBound: 0
; FloatMode: 240
; IeeeMode: 1
; LDSByteSize: 0 bytes/workgroup (compile time only)
; SGPRBlocks: 5
; VGPRBlocks: 4
; NumSGPRsForWavesPerEU: 48
; NumVGPRsForWavesPerEU: 20
; Occupancy: 10
; WaveLimiterHint : 0
; COMPUTE_PGM_RSRC2:SCRATCH_EN: 0
; COMPUTE_PGM_RSRC2:USER_SGPR: 6
; COMPUTE_PGM_RSRC2:TRAP_HANDLER: 0
; COMPUTE_PGM_RSRC2:TGID_X_EN: 1
; COMPUTE_PGM_RSRC2:TGID_Y_EN: 1
; COMPUTE_PGM_RSRC2:TGID_Z_EN: 1
; COMPUTE_PGM_RSRC2:TIDIG_COMP_CNT: 2
	.section	.AMDGPU.gpr_maximums,"",@progbits
	.set amdgpu.max_num_vgpr, 0
	.set amdgpu.max_num_agpr, 0
	.set amdgpu.max_num_sgpr, 0
	.section	.AMDGPU.csdata,"",@progbits
	.type	__hip_cuid_eaaf9a21a3c4d908,@object ; @__hip_cuid_eaaf9a21a3c4d908
	.section	.bss,"aw",@nobits
	.globl	__hip_cuid_eaaf9a21a3c4d908
__hip_cuid_eaaf9a21a3c4d908:
	.byte	0                               ; 0x0
	.size	__hip_cuid_eaaf9a21a3c4d908, 1

	.ident	"AMD clang version 22.0.0git (https://github.com/RadeonOpenCompute/llvm-project roc-7.2.4 26084 f58b06dce1f9c15707c5f808fd002e18c2accf7e)"
	.section	".note.GNU-stack","",@progbits
	.addrsig
	.addrsig_sym __hip_cuid_eaaf9a21a3c4d908
	.amdgpu_metadata
---
amdhsa.kernels:
  - .args:
      - .actual_access:  read_only
        .address_space:  global
        .offset:         0
        .size:           8
        .value_kind:     global_buffer
      - .offset:         8
        .size:           8
        .value_kind:     by_value
      - .offset:         16
        .size:           24
        .value_kind:     by_value
      - .offset:         40
        .size:           12
        .value_kind:     by_value
      - .address_space:  global
        .offset:         56
        .size:           8
        .value_kind:     global_buffer
      - .offset:         64
        .size:           8
        .value_kind:     by_value
      - .offset:         72
        .size:           4
        .value_kind:     by_value
      - .offset:         76
        .size:           4
        .value_kind:     by_value
      - .offset:         80
        .size:           8
        .value_kind:     by_value
      - .offset:         88
        .size:           4
        .value_kind:     by_value
      - .offset:         92
        .size:           4
        .value_kind:     by_value
    .group_segment_fixed_size: 0
    .kernarg_segment_align: 8
    .kernarg_segment_size: 96
    .language:       OpenCL C
    .language_version:
      - 2
      - 0
    .max_flat_workgroup_size: 1024
    .name:           _Z21backprojection_kernelPfm15HIP_vector_typeIyLj3EES0_IfLj3EEP13__hip_textureS0_IfLj2EEffS5_ff
    .private_segment_fixed_size: 0
    .sgpr_count:     4
    .sgpr_spill_count: 0
    .symbol:         _Z21backprojection_kernelPfm15HIP_vector_typeIyLj3EES0_IfLj3EEP13__hip_textureS0_IfLj2EEffS5_ff.kd
    .uniform_work_group_size: 1
    .uses_dynamic_stack: false
    .vgpr_count:     0
    .vgpr_spill_count: 0
    .wavefront_size: 64
  - .args:
      - .address_space:  global
        .offset:         0
        .size:           8
        .value_kind:     global_buffer
      - .offset:         8
        .size:           8
        .value_kind:     by_value
      - .offset:         16
        .size:           24
        .value_kind:     by_value
      - .offset:         40
        .size:           12
        .value_kind:     by_value
      - .actual_access:  read_only
        .address_space:  global
        .offset:         56
        .size:           8
        .value_kind:     global_buffer
      - .offset:         64
        .size:           8
        .value_kind:     by_value
      - .offset:         72
        .size:           8
        .value_kind:     by_value
      - .offset:         80
        .size:           8
        .value_kind:     by_value
      - .offset:         88
        .size:           4
        .value_kind:     by_value
      - .offset:         92
        .size:           4
        .value_kind:     by_value
      - .offset:         96
        .size:           8
        .value_kind:     by_value
      - .offset:         104
        .size:           4
        .value_kind:     by_value
      - .offset:         108
        .size:           4
        .value_kind:     by_value
      - .offset:         112
        .size:           4
        .value_kind:     hidden_block_count_x
      - .offset:         116
        .size:           4
        .value_kind:     hidden_block_count_y
      - .offset:         120
        .size:           4
        .value_kind:     hidden_block_count_z
      - .offset:         124
        .size:           2
        .value_kind:     hidden_group_size_x
      - .offset:         126
        .size:           2
        .value_kind:     hidden_group_size_y
      - .offset:         128
        .size:           2
        .value_kind:     hidden_group_size_z
      - .offset:         130
        .size:           2
        .value_kind:     hidden_remainder_x
      - .offset:         132
        .size:           2
        .value_kind:     hidden_remainder_y
      - .offset:         134
        .size:           2
        .value_kind:     hidden_remainder_z
      - .offset:         152
        .size:           8
        .value_kind:     hidden_global_offset_x
      - .offset:         160
        .size:           8
        .value_kind:     hidden_global_offset_y
      - .offset:         168
        .size:           8
        .value_kind:     hidden_global_offset_z
      - .offset:         176
        .size:           2
        .value_kind:     hidden_grid_dims
    .group_segment_fixed_size: 0
    .kernarg_segment_align: 8
    .kernarg_segment_size: 368
    .language:       OpenCL C
    .language_version:
      - 2
      - 0
    .max_flat_workgroup_size: 1024
    .name:           _Z28backprojection_kernel_no_texPfm15HIP_vector_typeIyLj3EES0_IfLj3EEPKfmS0_IjLj2EES0_IfLj2EEffS6_ff
    .private_segment_fixed_size: 0
    .sgpr_count:     48
    .sgpr_spill_count: 0
    .symbol:         _Z28backprojection_kernel_no_texPfm15HIP_vector_typeIyLj3EES0_IfLj3EEPKfmS0_IjLj2EES0_IfLj2EEffS6_ff.kd
    .uniform_work_group_size: 1
    .uses_dynamic_stack: false
    .vgpr_count:     20
    .vgpr_spill_count: 0
    .wavefront_size: 64
amdhsa.target:   amdgcn-amd-amdhsa--gfx906
amdhsa.version:
  - 1
  - 2
...

	.end_amdgpu_metadata
